;; amdgpu-corpus repo=ROCm/rocFFT kind=compiled arch=gfx906 opt=O3
	.text
	.amdgcn_target "amdgcn-amd-amdhsa--gfx906"
	.amdhsa_code_object_version 6
	.protected	fft_rtc_back_len52_factors_13_4_wgs_128_tpt_4_halfLds_dim1_dp_op_CI_CI_unitstride_sbrr_C2R_dirReg ; -- Begin function fft_rtc_back_len52_factors_13_4_wgs_128_tpt_4_halfLds_dim1_dp_op_CI_CI_unitstride_sbrr_C2R_dirReg
	.globl	fft_rtc_back_len52_factors_13_4_wgs_128_tpt_4_halfLds_dim1_dp_op_CI_CI_unitstride_sbrr_C2R_dirReg
	.p2align	8
	.type	fft_rtc_back_len52_factors_13_4_wgs_128_tpt_4_halfLds_dim1_dp_op_CI_CI_unitstride_sbrr_C2R_dirReg,@function
fft_rtc_back_len52_factors_13_4_wgs_128_tpt_4_halfLds_dim1_dp_op_CI_CI_unitstride_sbrr_C2R_dirReg: ; @fft_rtc_back_len52_factors_13_4_wgs_128_tpt_4_halfLds_dim1_dp_op_CI_CI_unitstride_sbrr_C2R_dirReg
; %bb.0:
	s_load_dwordx4 s[8:11], s[4:5], 0x18
	v_lshrrev_b32_e32 v1, 2, v0
	v_lshl_or_b32 v66, s6, 5, v1
	v_mov_b32_e32 v67, 0
	v_and_b32_e32 v64, 3, v0
	s_waitcnt lgkmcnt(0)
	v_cmp_gt_u64_e32 vcc, s[10:11], v[66:67]
	v_cmp_le_u64_e64 s[0:1], s[10:11], v[66:67]
	s_and_saveexec_b64 s[2:3], s[0:1]
	s_xor_b64 s[0:1], exec, s[2:3]
; %bb.1:
	v_and_b32_e32 v64, 3, v0
; %bb.2:
	s_or_saveexec_b64 s[2:3], s[0:1]
	s_load_dwordx2 s[10:11], s[4:5], 0x0
	s_load_dwordx2 s[6:7], s[8:9], 0x8
	v_mul_u32_u24_e32 v68, 53, v1
	v_lshlrev_b32_e32 v48, 4, v68
	s_xor_b64 exec, exec, s[2:3]
	s_cbranch_execz .LBB0_6
; %bb.3:
	s_load_dwordx2 s[0:1], s[4:5], 0x10
	s_load_dwordx2 s[8:9], s[4:5], 0x50
	s_waitcnt lgkmcnt(0)
	v_mov_b32_e32 v3, s9
	s_load_dwordx2 s[0:1], s[0:1], 0x8
	s_waitcnt lgkmcnt(0)
	v_mad_u64_u32 v[0:1], s[12:13], s0, v66, 0
	v_mad_u64_u32 v[1:2], s[0:1], s1, v66, v[1:2]
	v_lshlrev_b32_e32 v2, 4, v64
	v_lshlrev_b64 v[0:1], 4, v[0:1]
	v_add_co_u32_e64 v0, s[0:1], s8, v0
	v_addc_co_u32_e64 v1, s[0:1], v3, v1, s[0:1]
	v_add_co_u32_e64 v57, s[0:1], v0, v2
	v_addc_co_u32_e64 v58, s[0:1], 0, v1, s[0:1]
	global_load_dwordx4 v[3:6], v[57:58], off
	global_load_dwordx4 v[7:10], v[57:58], off offset:64
	global_load_dwordx4 v[11:14], v[57:58], off offset:128
	;; [unrolled: 1-line block ×12, first 2 shown]
	v_add3_u32 v2, 0, v48, v2
	v_cmp_eq_u32_e64 s[0:1], 3, v64
	s_waitcnt vmcnt(12)
	ds_write_b128 v2, v[3:6]
	s_waitcnt vmcnt(11)
	ds_write_b128 v2, v[7:10] offset:64
	s_waitcnt vmcnt(10)
	ds_write_b128 v2, v[11:14] offset:128
	;; [unrolled: 2-line block ×12, first 2 shown]
	s_and_saveexec_b64 s[8:9], s[0:1]
	s_cbranch_execz .LBB0_5
; %bb.4:
	global_load_dwordx4 v[3:6], v[0:1], off offset:832
	v_mov_b32_e32 v64, 3
	s_waitcnt vmcnt(0)
	ds_write_b128 v2, v[3:6] offset:784
.LBB0_5:
	s_or_b64 exec, exec, s[8:9]
.LBB0_6:
	s_or_b64 exec, exec, s[2:3]
	v_lshl_add_u32 v67, v68, 4, 0
	v_lshlrev_b32_e32 v0, 4, v64
	v_add_u32_e32 v49, v67, v0
	s_waitcnt lgkmcnt(0)
	s_barrier
	v_sub_u32_e32 v10, v67, v0
	ds_read_b64 v[6:7], v49
	ds_read_b64 v[8:9], v10 offset:832
	v_cmp_eq_u32_e64 s[0:1], 0, v64
	v_cmp_ne_u32_e64 s[2:3], 0, v64
                                        ; implicit-def: $vgpr4_vgpr5
	s_waitcnt lgkmcnt(0)
	v_add_f64 v[0:1], v[6:7], v[8:9]
	v_add_f64 v[2:3], v[6:7], -v[8:9]
	s_and_saveexec_b64 s[8:9], s[2:3]
	s_xor_b64 s[8:9], exec, s[8:9]
	s_cbranch_execz .LBB0_8
; %bb.7:
	v_mov_b32_e32 v65, 0
	v_lshlrev_b64 v[0:1], 4, v[64:65]
	v_mov_b32_e32 v2, s11
	v_add_co_u32_e64 v0, s[2:3], s10, v0
	v_addc_co_u32_e64 v1, s[2:3], v2, v1, s[2:3]
	global_load_dwordx4 v[2:5], v[0:1], off offset:624
	ds_read_b64 v[0:1], v10 offset:840
	ds_read_b64 v[11:12], v49 offset:8
	v_add_f64 v[13:14], v[6:7], v[8:9]
	v_add_f64 v[8:9], v[6:7], -v[8:9]
	s_waitcnt lgkmcnt(0)
	v_add_f64 v[15:16], v[0:1], v[11:12]
	v_add_f64 v[0:1], v[11:12], -v[0:1]
	s_waitcnt vmcnt(0)
	v_fma_f64 v[6:7], -v[8:9], v[4:5], v[13:14]
	v_fma_f64 v[11:12], v[15:16], v[4:5], -v[0:1]
	v_fma_f64 v[13:14], v[8:9], v[4:5], v[13:14]
	v_fma_f64 v[17:18], v[15:16], v[4:5], v[0:1]
	;; [unrolled: 1-line block ×4, first 2 shown]
	v_fma_f64 v[0:1], -v[15:16], v[2:3], v[13:14]
	v_fma_f64 v[2:3], v[8:9], v[2:3], v[17:18]
	ds_write_b128 v10, v[4:7] offset:832
	v_mov_b32_e32 v4, v64
	v_mov_b32_e32 v5, v65
.LBB0_8:
	s_andn2_saveexec_b64 s[2:3], s[8:9]
	s_cbranch_execz .LBB0_10
; %bb.9:
	ds_read_b128 v[4:7], v67 offset:416
	s_waitcnt lgkmcnt(0)
	v_add_f64 v[11:12], v[4:5], v[4:5]
	v_mul_f64 v[13:14], v[6:7], -2.0
	v_mov_b32_e32 v4, 0
	v_mov_b32_e32 v5, 0
	ds_write_b128 v67, v[11:14] offset:416
.LBB0_10:
	s_or_b64 exec, exec, s[2:3]
	s_add_u32 s2, s10, 0x270
	v_lshlrev_b64 v[4:5], 4, v[4:5]
	s_addc_u32 s3, s11, 0
	v_mov_b32_e32 v6, s3
	v_add_co_u32_e64 v4, s[2:3], s2, v4
	v_addc_co_u32_e64 v5, s[2:3], v6, v5, s[2:3]
	global_load_dwordx4 v[6:9], v[4:5], off offset:64
	global_load_dwordx4 v[11:14], v[4:5], off offset:128
	ds_write_b128 v49, v[0:3]
	ds_read_b128 v[0:3], v49 offset:64
	ds_read_b128 v[15:18], v10 offset:768
	global_load_dwordx4 v[19:22], v[4:5], off offset:192
	s_waitcnt lgkmcnt(0)
	v_add_f64 v[23:24], v[0:1], v[15:16]
	v_add_f64 v[25:26], v[17:18], v[2:3]
	v_add_f64 v[27:28], v[0:1], -v[15:16]
	v_add_f64 v[0:1], v[2:3], -v[17:18]
	s_waitcnt vmcnt(2)
	v_fma_f64 v[2:3], v[27:28], v[8:9], v[23:24]
	v_fma_f64 v[15:16], v[25:26], v[8:9], v[0:1]
	v_fma_f64 v[17:18], -v[27:28], v[8:9], v[23:24]
	v_fma_f64 v[8:9], v[25:26], v[8:9], -v[0:1]
	v_fma_f64 v[0:1], -v[25:26], v[6:7], v[2:3]
	v_fma_f64 v[2:3], v[27:28], v[6:7], v[15:16]
	v_fma_f64 v[15:16], v[25:26], v[6:7], v[17:18]
	v_fma_f64 v[17:18], v[27:28], v[6:7], v[8:9]
	ds_write_b128 v49, v[0:3] offset:64
	ds_write_b128 v10, v[15:18] offset:768
	ds_read_b128 v[0:3], v49 offset:128
	ds_read_b128 v[6:9], v10 offset:704
	global_load_dwordx4 v[15:18], v[4:5], off offset:256
	s_waitcnt lgkmcnt(0)
	v_add_f64 v[23:24], v[0:1], v[6:7]
	v_add_f64 v[25:26], v[8:9], v[2:3]
	v_add_f64 v[27:28], v[0:1], -v[6:7]
	v_add_f64 v[0:1], v[2:3], -v[8:9]
	s_waitcnt vmcnt(2)
	v_fma_f64 v[2:3], v[27:28], v[13:14], v[23:24]
	v_fma_f64 v[6:7], v[25:26], v[13:14], v[0:1]
	v_fma_f64 v[8:9], -v[27:28], v[13:14], v[23:24]
	v_fma_f64 v[13:14], v[25:26], v[13:14], -v[0:1]
	v_fma_f64 v[0:1], -v[25:26], v[11:12], v[2:3]
	v_fma_f64 v[2:3], v[27:28], v[11:12], v[6:7]
	v_fma_f64 v[6:7], v[25:26], v[11:12], v[8:9]
	v_fma_f64 v[8:9], v[27:28], v[11:12], v[13:14]
	ds_write_b128 v49, v[0:3] offset:128
	ds_write_b128 v10, v[6:9] offset:704
	;; [unrolled: 19-line block ×3, first 2 shown]
	ds_read_b128 v[0:3], v49 offset:256
	ds_read_b128 v[6:9], v10 offset:576
	s_waitcnt lgkmcnt(0)
	v_add_f64 v[19:20], v[0:1], v[6:7]
	v_add_f64 v[21:22], v[8:9], v[2:3]
	v_add_f64 v[23:24], v[0:1], -v[6:7]
	v_add_f64 v[0:1], v[2:3], -v[8:9]
	s_waitcnt vmcnt(1)
	v_fma_f64 v[2:3], v[23:24], v[17:18], v[19:20]
	v_fma_f64 v[6:7], v[21:22], v[17:18], v[0:1]
	v_fma_f64 v[8:9], -v[23:24], v[17:18], v[19:20]
	v_fma_f64 v[17:18], v[21:22], v[17:18], -v[0:1]
	v_fma_f64 v[0:1], -v[21:22], v[15:16], v[2:3]
	v_fma_f64 v[2:3], v[23:24], v[15:16], v[6:7]
	v_fma_f64 v[6:7], v[21:22], v[15:16], v[8:9]
	;; [unrolled: 1-line block ×3, first 2 shown]
	ds_write_b128 v49, v[0:3] offset:256
	ds_write_b128 v10, v[6:9] offset:576
	ds_read_b128 v[0:3], v49 offset:320
	ds_read_b128 v[6:9], v10 offset:512
	s_waitcnt lgkmcnt(0)
	v_add_f64 v[15:16], v[0:1], v[6:7]
	v_add_f64 v[17:18], v[8:9], v[2:3]
	v_add_f64 v[19:20], v[0:1], -v[6:7]
	v_add_f64 v[0:1], v[2:3], -v[8:9]
	s_waitcnt vmcnt(0)
	v_fma_f64 v[2:3], v[19:20], v[13:14], v[15:16]
	v_fma_f64 v[6:7], v[17:18], v[13:14], v[0:1]
	v_fma_f64 v[8:9], -v[19:20], v[13:14], v[15:16]
	v_fma_f64 v[13:14], v[17:18], v[13:14], -v[0:1]
	v_fma_f64 v[0:1], -v[17:18], v[11:12], v[2:3]
	v_fma_f64 v[2:3], v[19:20], v[11:12], v[6:7]
	v_fma_f64 v[6:7], v[17:18], v[11:12], v[8:9]
	v_fma_f64 v[8:9], v[19:20], v[11:12], v[13:14]
	v_or_b32_e32 v11, 24, v64
	v_cmp_gt_u32_e64 s[2:3], 26, v11
	ds_write_b128 v49, v[0:3] offset:320
	ds_write_b128 v10, v[6:9] offset:512
	s_and_saveexec_b64 s[8:9], s[2:3]
	s_cbranch_execz .LBB0_12
; %bb.11:
	global_load_dwordx4 v[0:3], v[4:5], off offset:384
	ds_read_b128 v[4:7], v49 offset:384
	ds_read_b128 v[11:14], v10 offset:448
	s_waitcnt lgkmcnt(0)
	v_add_f64 v[8:9], v[4:5], v[11:12]
	v_add_f64 v[15:16], v[13:14], v[6:7]
	v_add_f64 v[11:12], v[4:5], -v[11:12]
	v_add_f64 v[4:5], v[6:7], -v[13:14]
	s_waitcnt vmcnt(0)
	v_fma_f64 v[6:7], v[11:12], v[2:3], v[8:9]
	v_fma_f64 v[13:14], v[15:16], v[2:3], v[4:5]
	v_fma_f64 v[8:9], -v[11:12], v[2:3], v[8:9]
	v_fma_f64 v[17:18], v[15:16], v[2:3], -v[4:5]
	v_fma_f64 v[2:3], -v[15:16], v[0:1], v[6:7]
	v_fma_f64 v[4:5], v[11:12], v[0:1], v[13:14]
	v_fma_f64 v[6:7], v[15:16], v[0:1], v[8:9]
	;; [unrolled: 1-line block ×3, first 2 shown]
	ds_write_b128 v49, v[2:5] offset:384
	ds_write_b128 v10, v[6:9] offset:448
.LBB0_12:
	s_or_b64 exec, exec, s[8:9]
	v_lshl_add_u32 v69, v64, 4, 0
	s_waitcnt lgkmcnt(0)
	s_barrier
	s_barrier
	v_add_u32_e32 v65, v69, v48
	ds_read_b128 v[0:3], v49
	ds_read_b128 v[4:7], v65 offset:64
	ds_read_b128 v[8:11], v65 offset:128
	ds_read_b128 v[12:15], v65 offset:192
	ds_read_b128 v[38:41], v65 offset:256
	ds_read_b128 v[30:33], v65 offset:320
	ds_read_b128 v[22:25], v65 offset:384
	s_waitcnt lgkmcnt(5)
	v_add_f64 v[16:17], v[0:1], v[4:5]
	v_add_f64 v[18:19], v[2:3], v[6:7]
	ds_read_b128 v[26:29], v65 offset:448
	ds_read_b128 v[42:45], v65 offset:512
	ds_read_b128 v[50:53], v65 offset:576
	ds_read_b128 v[54:57], v65 offset:640
	ds_read_b128 v[58:61], v65 offset:704
	ds_read_b128 v[70:73], v65 offset:768
	s_mov_b32 s22, 0x4267c47c
	s_waitcnt lgkmcnt(5)
	v_add_f64 v[20:21], v[24:25], v[28:29]
	s_mov_b32 s14, 0x42a4c3d2
	s_mov_b32 s2, 0x66966769
	v_add_f64 v[16:17], v[16:17], v[8:9]
	v_add_f64 v[18:19], v[18:19], v[10:11]
	s_waitcnt lgkmcnt(0)
	v_add_f64 v[62:63], v[6:7], -v[72:73]
	v_add_f64 v[76:77], v[4:5], -v[70:71]
	s_mov_b32 s12, 0x2ef20147
	s_mov_b32 s24, 0x24c2f84
	;; [unrolled: 1-line block ×4, first 2 shown]
	v_add_f64 v[16:17], v[16:17], v[12:13]
	v_add_f64 v[18:19], v[18:19], v[14:15]
	s_mov_b32 s15, 0xbfea55e2
	s_mov_b32 s3, 0xbfefc445
	;; [unrolled: 1-line block ×5, first 2 shown]
	v_add_f64 v[74:75], v[6:7], v[72:73]
	v_add_f64 v[16:17], v[16:17], v[38:39]
	;; [unrolled: 1-line block ×3, first 2 shown]
	v_mul_f64 v[6:7], v[62:63], s[14:15]
	v_mul_f64 v[78:79], v[62:63], s[2:3]
	s_mov_b32 s18, 0xe00740e9
	s_mov_b32 s16, 0x1ea71119
	;; [unrolled: 1-line block ×4, first 2 shown]
	v_add_f64 v[16:17], v[16:17], v[30:31]
	v_add_f64 v[18:19], v[18:19], v[32:33]
	s_mov_b32 s30, 0xd0032e0c
	s_mov_b32 s40, 0x93053d00
	;; [unrolled: 1-line block ×6, first 2 shown]
	v_add_f64 v[34:35], v[16:17], v[22:23]
	v_add_f64 v[36:37], v[18:19], v[24:25]
	;; [unrolled: 1-line block ×3, first 2 shown]
	v_add_f64 v[16:17], v[22:23], -v[26:27]
	v_add_f64 v[22:23], v[24:25], -v[28:29]
	;; [unrolled: 1-line block ×3, first 2 shown]
	s_mov_b32 s31, 0xbfe7f3cc
	s_mov_b32 s41, 0xbfef11f4
	v_add_f64 v[46:47], v[34:35], v[26:27]
	v_add_f64 v[36:37], v[36:37], v[28:29]
	;; [unrolled: 1-line block ×4, first 2 shown]
	v_add_f64 v[34:35], v[32:33], -v[44:45]
	v_add_f64 v[32:33], v[38:39], v[50:51]
	v_add_f64 v[30:31], v[38:39], -v[50:51]
	v_add_f64 v[38:39], v[12:13], v[54:55]
	v_add_f64 v[46:47], v[46:47], v[42:43]
	;; [unrolled: 1-line block ×4, first 2 shown]
	v_add_f64 v[40:41], v[40:41], -v[52:53]
	v_add_f64 v[12:13], v[12:13], -v[54:55]
	v_add_f64 v[42:43], v[14:15], v[56:57]
	v_mul_f64 v[84:85], v[74:75], s[18:19]
	s_mov_b32 s29, 0x3fddbe06
	v_add_f64 v[50:51], v[46:47], v[50:51]
	v_add_f64 v[52:53], v[44:45], v[52:53]
	v_add_f64 v[44:45], v[14:15], -v[56:57]
	v_add_f64 v[14:15], v[8:9], v[58:59]
	v_add_f64 v[46:47], v[10:11], v[60:61]
	v_add_f64 v[8:9], v[8:9], -v[58:59]
	v_add_f64 v[10:11], v[10:11], -v[60:61]
	s_mov_b32 s28, s22
	v_add_f64 v[50:51], v[50:51], v[54:55]
	v_add_f64 v[52:53], v[52:53], v[56:57]
	;; [unrolled: 1-line block ×3, first 2 shown]
	v_mul_f64 v[56:57], v[62:63], s[22:23]
	s_mov_b32 s35, 0x3fea55e2
	s_mov_b32 s34, s14
	v_fma_f64 v[88:89], v[76:77], s[28:29], v[84:85]
	v_mul_f64 v[90:91], v[74:75], s[8:9]
	v_add_f64 v[4:5], v[50:51], v[58:59]
	v_add_f64 v[50:51], v[52:53], v[60:61]
	v_mul_f64 v[52:53], v[62:63], s[12:13]
	v_fma_f64 v[58:59], v[54:55], s[18:19], v[56:57]
	v_fma_f64 v[56:57], v[54:55], s[18:19], -v[56:57]
	v_fma_f64 v[60:61], v[54:55], s[16:17], v[6:7]
	v_fma_f64 v[80:81], v[54:55], s[16:17], -v[6:7]
	v_fma_f64 v[82:83], v[54:55], s[8:9], v[78:79]
	v_add_f64 v[4:5], v[4:5], v[70:71]
	v_mul_f64 v[70:71], v[62:63], s[24:25]
	v_mul_f64 v[62:63], v[62:63], s[44:45]
	v_add_f64 v[6:7], v[50:51], v[72:73]
	v_fma_f64 v[50:51], v[54:55], s[8:9], -v[78:79]
	v_fma_f64 v[72:73], v[54:55], s[20:21], v[52:53]
	v_fma_f64 v[52:53], v[54:55], s[20:21], -v[52:53]
	v_mul_f64 v[94:95], v[74:75], s[20:21]
	v_mul_f64 v[98:99], v[74:75], s[30:31]
	v_fma_f64 v[78:79], v[54:55], s[30:31], v[70:71]
	v_fma_f64 v[70:71], v[54:55], s[30:31], -v[70:71]
	v_fma_f64 v[86:87], v[54:55], s[40:41], v[62:63]
	v_fma_f64 v[54:55], v[54:55], s[40:41], -v[62:63]
	v_mul_f64 v[62:63], v[74:75], s[16:17]
	v_mul_f64 v[74:75], v[74:75], s[40:41]
	s_mov_b32 s27, 0x3fefc445
	s_mov_b32 s26, s2
	;; [unrolled: 1-line block ×6, first 2 shown]
	v_fma_f64 v[92:93], v[76:77], s[34:35], v[62:63]
	s_mov_b32 s43, 0x3fcea1e5
	s_mov_b32 s42, s44
	v_fma_f64 v[84:85], v[76:77], s[22:23], v[84:85]
	v_fma_f64 v[62:63], v[76:77], s[14:15], v[62:63]
	;; [unrolled: 1-line block ×10, first 2 shown]
	v_add_f64 v[76:77], v[2:3], v[88:89]
	v_add_f64 v[88:89], v[2:3], v[92:93]
	v_mul_f64 v[92:93], v[10:11], s[14:15]
	v_mul_f64 v[106:107], v[46:47], s[16:17]
	v_add_f64 v[58:59], v[0:1], v[58:59]
	v_add_f64 v[108:109], v[0:1], v[50:51]
	;; [unrolled: 1-line block ×3, first 2 shown]
	v_mul_f64 v[112:113], v[44:45], s[2:3]
	v_mul_f64 v[114:115], v[42:43], s[8:9]
	v_add_f64 v[116:117], v[0:1], v[52:53]
	v_fma_f64 v[50:51], v[14:15], s[16:17], v[92:93]
	v_fma_f64 v[72:73], v[8:9], s[34:35], v[106:107]
	v_add_f64 v[118:119], v[0:1], v[78:79]
	v_mul_f64 v[78:79], v[36:37], s[20:21]
	v_add_f64 v[120:121], v[0:1], v[70:71]
	v_mul_f64 v[122:123], v[28:29], s[30:31]
	v_add_f64 v[56:57], v[0:1], v[56:57]
	v_add_f64 v[84:85], v[2:3], v[84:85]
	;; [unrolled: 1-line block ×4, first 2 shown]
	v_fma_f64 v[58:59], v[38:39], s[8:9], v[112:113]
	v_fma_f64 v[72:73], v[12:13], s[26:27], v[114:115]
	v_mul_f64 v[76:77], v[40:41], s[12:13]
	v_fma_f64 v[70:71], v[30:31], s[36:37], v[78:79]
	v_add_f64 v[60:61], v[0:1], v[60:61]
	v_add_f64 v[80:81], v[0:1], v[80:81]
	;; [unrolled: 1-line block ×6, first 2 shown]
	v_fma_f64 v[58:59], v[32:33], s[20:21], v[76:77]
	v_mul_f64 v[72:73], v[34:35], s[24:25]
	v_add_f64 v[96:97], v[2:3], v[96:97]
	v_add_f64 v[90:91], v[2:3], v[90:91]
	v_add_f64 v[100:101], v[2:3], v[100:101]
	v_add_f64 v[94:95], v[2:3], v[94:95]
	v_add_f64 v[102:103], v[2:3], v[102:103]
	v_add_f64 v[98:99], v[2:3], v[98:99]
	v_add_f64 v[86:87], v[0:1], v[86:87]
	v_add_f64 v[104:105], v[2:3], v[104:105]
	v_add_f64 v[124:125], v[0:1], v[54:55]
	v_add_f64 v[126:127], v[2:3], v[74:75]
	v_fma_f64 v[0:1], v[14:15], s[16:17], -v[92:93]
	v_fma_f64 v[2:3], v[8:9], s[14:15], v[106:107]
	v_add_f64 v[50:51], v[58:59], v[50:51]
	v_add_f64 v[52:53], v[70:71], v[52:53]
	v_fma_f64 v[54:55], v[26:27], s[30:31], v[72:73]
	v_fma_f64 v[58:59], v[24:25], s[38:39], v[122:123]
	v_mul_f64 v[70:71], v[22:23], s[44:45]
	v_mul_f64 v[74:75], v[20:21], s[40:41]
	v_add_f64 v[0:1], v[0:1], v[56:57]
	v_add_f64 v[2:3], v[2:3], v[84:85]
	v_fma_f64 v[56:57], v[38:39], s[8:9], -v[112:113]
	v_fma_f64 v[84:85], v[12:13], s[2:3], v[114:115]
	v_add_f64 v[50:51], v[54:55], v[50:51]
	v_add_f64 v[52:53], v[58:59], v[52:53]
	v_fma_f64 v[54:55], v[18:19], s[40:41], v[70:71]
	v_fma_f64 v[58:59], v[16:17], s[42:43], v[74:75]
	v_mul_f64 v[92:93], v[10:11], s[12:13]
	v_mul_f64 v[106:107], v[46:47], s[20:21]
	v_add_f64 v[0:1], v[56:57], v[0:1]
	v_add_f64 v[2:3], v[84:85], v[2:3]
	;; [unrolled: 10-line block ×19, first 2 shown]
	v_fma_f64 v[96:97], v[18:19], s[16:17], -v[96:97]
	v_fma_f64 v[94:95], v[14:15], s[8:9], -v[94:95]
	v_add_f64 v[82:83], v[102:103], v[84:85]
	v_add_f64 v[84:85], v[112:113], v[88:89]
	v_fma_f64 v[88:89], v[32:33], s[40:41], v[114:115]
	v_fma_f64 v[106:107], v[8:9], s[26:27], v[106:107]
	;; [unrolled: 1-line block ×4, first 2 shown]
	v_fma_f64 v[90:91], v[38:39], s[16:17], -v[90:91]
	v_fma_f64 v[92:93], v[12:13], s[14:15], v[92:93]
	v_mul_f64 v[10:11], v[10:11], s[28:29]
	v_mul_f64 v[46:47], v[46:47], s[18:19]
	v_add_f64 v[88:89], v[88:89], v[82:83]
	v_add_f64 v[82:83], v[96:97], v[62:63]
	;; [unrolled: 1-line block ×4, first 2 shown]
	v_mul_f64 v[110:111], v[34:35], s[28:29]
	v_add_f64 v[102:103], v[102:103], v[84:85]
	v_add_f64 v[84:85], v[100:101], v[108:109]
	v_fma_f64 v[108:109], v[14:15], s[18:19], v[10:11]
	v_mul_f64 v[44:45], v[44:45], s[24:25]
	v_mul_f64 v[42:43], v[42:43], s[30:31]
	v_add_f64 v[62:63], v[90:91], v[62:63]
	v_add_f64 v[90:91], v[92:93], v[94:95]
	v_fma_f64 v[92:93], v[32:33], s[40:41], -v[114:115]
	v_fma_f64 v[94:95], v[30:31], s[42:43], v[116:117]
	v_fma_f64 v[114:115], v[8:9], s[22:23], v[46:47]
	v_fma_f64 v[10:11], v[14:15], s[18:19], -v[10:11]
	v_fma_f64 v[8:9], v[8:9], s[28:29], v[46:47]
	v_fma_f64 v[14:15], v[26:27], s[18:19], -v[110:111]
	v_add_f64 v[86:87], v[108:109], v[86:87]
	v_mul_f64 v[40:41], v[40:41], s[34:35]
	v_add_f64 v[62:63], v[92:93], v[62:63]
	v_add_f64 v[90:91], v[94:95], v[90:91]
	;; [unrolled: 1-line block ×3, first 2 shown]
	v_fma_f64 v[94:95], v[38:39], s[30:31], v[44:45]
	v_fma_f64 v[104:105], v[12:13], s[38:39], v[42:43]
	v_add_f64 v[10:11], v[10:11], v[124:125]
	v_mul_f64 v[36:37], v[36:37], s[16:17]
	v_fma_f64 v[38:39], v[38:39], s[30:31], -v[44:45]
	v_add_f64 v[8:9], v[8:9], v[126:127]
	v_fma_f64 v[12:13], v[12:13], s[24:25], v[42:43]
	v_mul_f64 v[112:113], v[28:29], s[18:19]
	v_add_f64 v[14:15], v[14:15], v[62:63]
	v_add_f64 v[44:45], v[94:95], v[86:87]
	;; [unrolled: 1-line block ×3, first 2 shown]
	v_fma_f64 v[42:43], v[32:33], s[16:17], v[40:41]
	v_fma_f64 v[62:63], v[30:31], s[14:15], v[36:37]
	v_add_f64 v[10:11], v[38:39], v[10:11]
	v_mul_f64 v[34:35], v[34:35], s[12:13]
	v_fma_f64 v[32:33], v[32:33], s[16:17], -v[40:41]
	v_mul_f64 v[28:29], v[28:29], s[20:21]
	v_add_f64 v[8:9], v[12:13], v[8:9]
	v_fma_f64 v[12:13], v[30:31], s[34:35], v[36:37]
	v_fma_f64 v[118:119], v[26:27], s[18:19], v[110:111]
	;; [unrolled: 1-line block ×3, first 2 shown]
	v_mul_f64 v[98:99], v[22:23], s[12:13]
	v_mul_f64 v[100:101], v[20:21], s[20:21]
	v_fma_f64 v[38:39], v[24:25], s[28:29], v[112:113]
	v_add_f64 v[30:31], v[42:43], v[44:45]
	v_add_f64 v[36:37], v[62:63], v[46:47]
	v_fma_f64 v[40:41], v[26:27], s[20:21], v[34:35]
	v_add_f64 v[10:11], v[32:33], v[10:11]
	v_fma_f64 v[32:33], v[24:25], s[36:37], v[28:29]
	v_mul_f64 v[22:23], v[22:23], s[26:27]
	v_mul_f64 v[20:21], v[20:21], s[8:9]
	v_fma_f64 v[26:27], v[26:27], s[20:21], -v[34:35]
	v_add_f64 v[8:9], v[12:13], v[8:9]
	v_fma_f64 v[12:13], v[24:25], s[12:13], v[28:29]
	v_add_f64 v[88:89], v[118:119], v[88:89]
	v_add_f64 v[96:97], v[122:123], v[102:103]
	v_fma_f64 v[102:103], v[18:19], s[20:21], v[98:99]
	v_fma_f64 v[106:107], v[16:17], s[36:37], v[100:101]
	v_add_f64 v[34:35], v[38:39], v[90:91]
	v_add_f64 v[24:25], v[40:41], v[30:31]
	;; [unrolled: 1-line block ×3, first 2 shown]
	v_fma_f64 v[38:39], v[18:19], s[8:9], v[22:23]
	v_fma_f64 v[40:41], v[16:17], s[2:3], v[20:21]
	v_add_f64 v[26:27], v[26:27], v[10:11]
	v_add_f64 v[36:37], v[12:13], v[8:9]
	v_fma_f64 v[22:23], v[18:19], s[8:9], -v[22:23]
	v_fma_f64 v[42:43], v[16:17], s[26:27], v[20:21]
	v_fma_f64 v[30:31], v[18:19], s[20:21], -v[98:99]
	v_fma_f64 v[32:33], v[16:17], s[12:13], v[100:101]
	v_add_f64 v[8:9], v[102:103], v[88:89]
	v_add_f64 v[10:11], v[106:107], v[96:97]
	;; [unrolled: 1-line block ×4, first 2 shown]
	v_mul_u32_u24_e32 v24, 0xd0, v64
	v_add_f64 v[20:21], v[22:23], v[26:27]
	v_add_f64 v[22:23], v[42:43], v[36:37]
	v_add3_u32 v24, 0, v24, v48
	v_add_f64 v[12:13], v[30:31], v[14:15]
	v_add_f64 v[14:15], v[32:33], v[34:35]
	s_barrier
	ds_write_b128 v24, v[4:7]
	ds_write_b128 v24, v[50:53] offset:16
	ds_write_b128 v24, v[54:57] offset:32
	;; [unrolled: 1-line block ×12, first 2 shown]
	s_waitcnt lgkmcnt(0)
	s_barrier
	ds_read_b128 v[24:27], v49
	ds_read_b128 v[16:19], v65 offset:64
	ds_read_b128 v[44:47], v65 offset:416
	;; [unrolled: 1-line block ×11, first 2 shown]
                                        ; implicit-def: $vgpr6_vgpr7
                                        ; implicit-def: $vgpr10_vgpr11
                                        ; implicit-def: $vgpr14_vgpr15
	s_and_saveexec_b64 s[2:3], s[0:1]
	s_cbranch_execz .LBB0_14
; %bb.13:
	ds_read_b128 v[0:3], v67 offset:192
	ds_read_b128 v[4:7], v67 offset:400
	ds_read_b128 v[8:11], v67 offset:608
	ds_read_b128 v[12:15], v67 offset:816
.LBB0_14:
	s_or_b64 exec, exec, s[2:3]
	v_mul_u32_u24_e32 v70, 3, v64
	v_lshlrev_b32_e32 v107, 4, v70
	global_load_dwordx4 v[71:74], v107, s[10:11]
	global_load_dwordx4 v[75:78], v107, s[10:11] offset:16
	global_load_dwordx4 v[79:82], v107, s[10:11] offset:32
	;; [unrolled: 1-line block ×8, first 2 shown]
	v_lshl_add_u32 v123, v68, 4, v69
	s_waitcnt vmcnt(0) lgkmcnt(0)
	s_barrier
	v_mul_f64 v[68:69], v[58:59], v[73:74]
	v_mul_f64 v[73:74], v[56:57], v[73:74]
	;; [unrolled: 1-line block ×17, first 2 shown]
	v_fma_f64 v[56:57], v[56:57], v[71:72], v[68:69]
	v_mul_f64 v[68:69], v[40:41], v[105:106]
	v_fma_f64 v[58:59], v[58:59], v[71:72], -v[73:74]
	v_fma_f64 v[44:45], v[44:45], v[75:76], v[107:108]
	v_fma_f64 v[46:47], v[46:47], v[75:76], -v[77:78]
	v_fma_f64 v[60:61], v[60:61], v[79:80], v[109:110]
	;; [unrolled: 2-line block ×8, first 2 shown]
	v_fma_f64 v[42:43], v[42:43], v[103:104], -v[68:69]
	v_add_f64 v[44:45], v[24:25], -v[44:45]
	v_add_f64 v[46:47], v[26:27], -v[46:47]
	;; [unrolled: 1-line block ×12, first 2 shown]
	v_fma_f64 v[73:74], v[24:25], 2.0, -v[44:45]
	v_fma_f64 v[75:76], v[26:27], 2.0, -v[46:47]
	;; [unrolled: 1-line block ×8, first 2 shown]
	v_add_f64 v[24:25], v[44:45], v[62:63]
	v_add_f64 v[26:27], v[46:47], -v[60:61]
	v_fma_f64 v[60:61], v[20:21], 2.0, -v[52:53]
	v_fma_f64 v[62:63], v[22:23], 2.0, -v[54:55]
	;; [unrolled: 1-line block ×4, first 2 shown]
	v_add_f64 v[16:17], v[68:69], v[30:31]
	v_add_f64 v[18:19], v[71:72], -v[28:29]
	v_add_f64 v[20:21], v[52:53], v[38:39]
	v_add_f64 v[22:23], v[54:55], -v[36:37]
	v_add_f64 v[28:29], v[73:74], -v[40:41]
	;; [unrolled: 1-line block ×5, first 2 shown]
	v_fma_f64 v[32:33], v[44:45], 2.0, -v[24:25]
	v_fma_f64 v[34:35], v[46:47], 2.0, -v[26:27]
	v_add_f64 v[44:45], v[60:61], -v[77:78]
	v_add_f64 v[46:47], v[62:63], -v[79:80]
	v_fma_f64 v[40:41], v[68:69], 2.0, -v[16:17]
	v_fma_f64 v[42:43], v[71:72], 2.0, -v[18:19]
	;; [unrolled: 1-line block ×4, first 2 shown]
	ds_write_b128 v65, v[24:27] offset:624
	ds_write_b128 v123, v[16:19] offset:688
	v_fma_f64 v[16:17], v[73:74], 2.0, -v[28:29]
	v_fma_f64 v[18:19], v[75:76], 2.0, -v[30:31]
	;; [unrolled: 1-line block ×6, first 2 shown]
	ds_write_b128 v65, v[32:35] offset:208
	ds_write_b128 v65, v[28:31] offset:416
	ds_write_b128 v123, v[40:43] offset:272
	ds_write_b128 v123, v[36:39] offset:480
	ds_write_b128 v123, v[48:51] offset:336
	ds_write_b128 v123, v[44:47] offset:544
	ds_write_b128 v65, v[16:19]
	ds_write_b128 v65, v[24:27] offset:64
	ds_write_b128 v65, v[52:55] offset:128
	;; [unrolled: 1-line block ×3, first 2 shown]
	s_and_saveexec_b64 s[2:3], s[0:1]
	s_cbranch_execz .LBB0_16
; %bb.15:
	v_add_u32_e32 v16, -3, v70
	v_cndmask_b32_e64 v16, v16, 36, s[0:1]
	v_mov_b32_e32 v17, 0
	v_lshlrev_b64 v[16:17], 4, v[16:17]
	v_mov_b32_e32 v18, s11
	v_add_co_u32_e64 v28, s[0:1], s10, v16
	v_addc_co_u32_e64 v29, s[0:1], v18, v17, s[0:1]
	global_load_dwordx4 v[16:19], v[28:29], off offset:16
	global_load_dwordx4 v[20:23], v[28:29], off
	global_load_dwordx4 v[24:27], v[28:29], off offset:32
	s_waitcnt vmcnt(2)
	v_mul_f64 v[28:29], v[8:9], v[18:19]
	s_waitcnt vmcnt(1)
	v_mul_f64 v[30:31], v[6:7], v[22:23]
	v_mul_f64 v[22:23], v[4:5], v[22:23]
	s_waitcnt vmcnt(0)
	v_mul_f64 v[32:33], v[12:13], v[26:27]
	v_mul_f64 v[18:19], v[10:11], v[18:19]
	;; [unrolled: 1-line block ×3, first 2 shown]
	v_fma_f64 v[10:11], v[10:11], v[16:17], -v[28:29]
	v_fma_f64 v[4:5], v[4:5], v[20:21], v[30:31]
	v_fma_f64 v[6:7], v[6:7], v[20:21], -v[22:23]
	v_fma_f64 v[14:15], v[14:15], v[24:25], -v[32:33]
	v_fma_f64 v[8:9], v[8:9], v[16:17], v[18:19]
	v_fma_f64 v[12:13], v[12:13], v[24:25], v[26:27]
	v_add_f64 v[10:11], v[2:3], -v[10:11]
	v_add_f64 v[14:15], v[6:7], -v[14:15]
	;; [unrolled: 1-line block ×4, first 2 shown]
	v_fma_f64 v[16:17], v[2:3], 2.0, -v[10:11]
	v_fma_f64 v[6:7], v[6:7], 2.0, -v[14:15]
	;; [unrolled: 1-line block ×4, first 2 shown]
	v_add_f64 v[2:3], v[10:11], -v[12:13]
	v_add_f64 v[0:1], v[8:9], v[14:15]
	v_add_f64 v[6:7], v[16:17], -v[6:7]
	v_add_f64 v[4:5], v[18:19], -v[4:5]
	v_fma_f64 v[10:11], v[10:11], 2.0, -v[2:3]
	v_fma_f64 v[8:9], v[8:9], 2.0, -v[0:1]
	;; [unrolled: 1-line block ×4, first 2 shown]
	ds_write_b128 v67, v[8:11] offset:400
	ds_write_b128 v67, v[4:7] offset:608
	;; [unrolled: 1-line block ×4, first 2 shown]
.LBB0_16:
	s_or_b64 exec, exec, s[2:3]
	s_waitcnt lgkmcnt(0)
	s_barrier
	s_and_saveexec_b64 s[0:1], vcc
	s_cbranch_execz .LBB0_18
; %bb.17:
	v_mad_u64_u32 v[4:5], s[0:1], s6, v66, 0
	s_load_dwordx2 s[0:1], s[4:5], 0x58
	v_lshl_add_u32 v10, v64, 4, v67
	v_mov_b32_e32 v0, v5
	v_mad_u64_u32 v[5:6], s[2:3], s7, v66, v[0:1]
	v_mov_b32_e32 v65, 0
	ds_read_b128 v[0:3], v10
	v_lshlrev_b64 v[4:5], 4, v[4:5]
	s_waitcnt lgkmcnt(0)
	v_mov_b32_e32 v6, s1
	v_add_co_u32_e32 v11, vcc, s0, v4
	v_addc_co_u32_e32 v12, vcc, v6, v5, vcc
	v_lshlrev_b64 v[4:5], 4, v[64:65]
	v_add_co_u32_e32 v8, vcc, v11, v4
	v_addc_co_u32_e32 v9, vcc, v12, v5, vcc
	ds_read_b128 v[4:7], v10 offset:64
	global_store_dwordx4 v[8:9], v[0:3], off
	s_nop 0
	v_add_u32_e32 v0, 4, v64
	v_mov_b32_e32 v1, v65
	v_lshlrev_b64 v[0:1], 4, v[0:1]
	v_add_co_u32_e32 v0, vcc, v11, v0
	v_addc_co_u32_e32 v1, vcc, v12, v1, vcc
	s_waitcnt lgkmcnt(0)
	global_store_dwordx4 v[0:1], v[4:7], off
	ds_read_b128 v[0:3], v10 offset:128
	v_add_u32_e32 v4, 8, v64
	v_mov_b32_e32 v5, v65
	v_lshlrev_b64 v[4:5], 4, v[4:5]
	v_add_co_u32_e32 v8, vcc, v11, v4
	v_addc_co_u32_e32 v9, vcc, v12, v5, vcc
	ds_read_b128 v[4:7], v10 offset:192
	s_waitcnt lgkmcnt(1)
	global_store_dwordx4 v[8:9], v[0:3], off
	s_nop 0
	v_add_u32_e32 v0, 12, v64
	v_mov_b32_e32 v1, v65
	v_lshlrev_b64 v[0:1], 4, v[0:1]
	v_add_co_u32_e32 v0, vcc, v11, v0
	v_addc_co_u32_e32 v1, vcc, v12, v1, vcc
	s_waitcnt lgkmcnt(0)
	global_store_dwordx4 v[0:1], v[4:7], off
	ds_read_b128 v[0:3], v10 offset:256
	v_add_u32_e32 v4, 16, v64
	v_mov_b32_e32 v5, v65
	v_lshlrev_b64 v[4:5], 4, v[4:5]
	v_add_co_u32_e32 v8, vcc, v11, v4
	v_addc_co_u32_e32 v9, vcc, v12, v5, vcc
	ds_read_b128 v[4:7], v10 offset:320
	s_waitcnt lgkmcnt(1)
	;; [unrolled: 17-line block ×5, first 2 shown]
	global_store_dwordx4 v[8:9], v[0:3], off
	s_nop 0
	v_add_u32_e32 v0, 44, v64
	v_mov_b32_e32 v1, v65
	v_lshlrev_b64 v[0:1], 4, v[0:1]
	v_add_u32_e32 v64, 48, v64
	v_add_co_u32_e32 v0, vcc, v11, v0
	v_addc_co_u32_e32 v1, vcc, v12, v1, vcc
	s_waitcnt lgkmcnt(0)
	global_store_dwordx4 v[0:1], v[4:7], off
	ds_read_b128 v[0:3], v10 offset:768
	v_lshlrev_b64 v[4:5], 4, v[64:65]
	v_add_co_u32_e32 v4, vcc, v11, v4
	v_addc_co_u32_e32 v5, vcc, v12, v5, vcc
	s_waitcnt lgkmcnt(0)
	global_store_dwordx4 v[4:5], v[0:3], off
.LBB0_18:
	s_endpgm
	.section	.rodata,"a",@progbits
	.p2align	6, 0x0
	.amdhsa_kernel fft_rtc_back_len52_factors_13_4_wgs_128_tpt_4_halfLds_dim1_dp_op_CI_CI_unitstride_sbrr_C2R_dirReg
		.amdhsa_group_segment_fixed_size 0
		.amdhsa_private_segment_fixed_size 0
		.amdhsa_kernarg_size 96
		.amdhsa_user_sgpr_count 6
		.amdhsa_user_sgpr_private_segment_buffer 1
		.amdhsa_user_sgpr_dispatch_ptr 0
		.amdhsa_user_sgpr_queue_ptr 0
		.amdhsa_user_sgpr_kernarg_segment_ptr 1
		.amdhsa_user_sgpr_dispatch_id 0
		.amdhsa_user_sgpr_flat_scratch_init 0
		.amdhsa_user_sgpr_private_segment_size 0
		.amdhsa_uses_dynamic_stack 0
		.amdhsa_system_sgpr_private_segment_wavefront_offset 0
		.amdhsa_system_sgpr_workgroup_id_x 1
		.amdhsa_system_sgpr_workgroup_id_y 0
		.amdhsa_system_sgpr_workgroup_id_z 0
		.amdhsa_system_sgpr_workgroup_info 0
		.amdhsa_system_vgpr_workitem_id 0
		.amdhsa_next_free_vgpr 128
		.amdhsa_next_free_sgpr 46
		.amdhsa_reserve_vcc 1
		.amdhsa_reserve_flat_scratch 0
		.amdhsa_float_round_mode_32 0
		.amdhsa_float_round_mode_16_64 0
		.amdhsa_float_denorm_mode_32 3
		.amdhsa_float_denorm_mode_16_64 3
		.amdhsa_dx10_clamp 1
		.amdhsa_ieee_mode 1
		.amdhsa_fp16_overflow 0
		.amdhsa_exception_fp_ieee_invalid_op 0
		.amdhsa_exception_fp_denorm_src 0
		.amdhsa_exception_fp_ieee_div_zero 0
		.amdhsa_exception_fp_ieee_overflow 0
		.amdhsa_exception_fp_ieee_underflow 0
		.amdhsa_exception_fp_ieee_inexact 0
		.amdhsa_exception_int_div_zero 0
	.end_amdhsa_kernel
	.text
.Lfunc_end0:
	.size	fft_rtc_back_len52_factors_13_4_wgs_128_tpt_4_halfLds_dim1_dp_op_CI_CI_unitstride_sbrr_C2R_dirReg, .Lfunc_end0-fft_rtc_back_len52_factors_13_4_wgs_128_tpt_4_halfLds_dim1_dp_op_CI_CI_unitstride_sbrr_C2R_dirReg
                                        ; -- End function
	.section	.AMDGPU.csdata,"",@progbits
; Kernel info:
; codeLenInByte = 7580
; NumSgprs: 50
; NumVgprs: 128
; ScratchSize: 0
; MemoryBound: 0
; FloatMode: 240
; IeeeMode: 1
; LDSByteSize: 0 bytes/workgroup (compile time only)
; SGPRBlocks: 6
; VGPRBlocks: 31
; NumSGPRsForWavesPerEU: 50
; NumVGPRsForWavesPerEU: 128
; Occupancy: 2
; WaveLimiterHint : 1
; COMPUTE_PGM_RSRC2:SCRATCH_EN: 0
; COMPUTE_PGM_RSRC2:USER_SGPR: 6
; COMPUTE_PGM_RSRC2:TRAP_HANDLER: 0
; COMPUTE_PGM_RSRC2:TGID_X_EN: 1
; COMPUTE_PGM_RSRC2:TGID_Y_EN: 0
; COMPUTE_PGM_RSRC2:TGID_Z_EN: 0
; COMPUTE_PGM_RSRC2:TIDIG_COMP_CNT: 0
	.type	__hip_cuid_5228420ab2b56c6a,@object ; @__hip_cuid_5228420ab2b56c6a
	.section	.bss,"aw",@nobits
	.globl	__hip_cuid_5228420ab2b56c6a
__hip_cuid_5228420ab2b56c6a:
	.byte	0                               ; 0x0
	.size	__hip_cuid_5228420ab2b56c6a, 1

	.ident	"AMD clang version 19.0.0git (https://github.com/RadeonOpenCompute/llvm-project roc-6.4.0 25133 c7fe45cf4b819c5991fe208aaa96edf142730f1d)"
	.section	".note.GNU-stack","",@progbits
	.addrsig
	.addrsig_sym __hip_cuid_5228420ab2b56c6a
	.amdgpu_metadata
---
amdhsa.kernels:
  - .args:
      - .actual_access:  read_only
        .address_space:  global
        .offset:         0
        .size:           8
        .value_kind:     global_buffer
      - .actual_access:  read_only
        .address_space:  global
        .offset:         8
        .size:           8
        .value_kind:     global_buffer
      - .actual_access:  read_only
        .address_space:  global
        .offset:         16
        .size:           8
        .value_kind:     global_buffer
      - .actual_access:  read_only
        .address_space:  global
        .offset:         24
        .size:           8
        .value_kind:     global_buffer
      - .offset:         32
        .size:           8
        .value_kind:     by_value
      - .actual_access:  read_only
        .address_space:  global
        .offset:         40
        .size:           8
        .value_kind:     global_buffer
      - .actual_access:  read_only
        .address_space:  global
        .offset:         48
        .size:           8
        .value_kind:     global_buffer
      - .offset:         56
        .size:           4
        .value_kind:     by_value
      - .actual_access:  read_only
        .address_space:  global
        .offset:         64
        .size:           8
        .value_kind:     global_buffer
      - .actual_access:  read_only
        .address_space:  global
        .offset:         72
        .size:           8
        .value_kind:     global_buffer
      - .actual_access:  read_only
        .address_space:  global
        .offset:         80
        .size:           8
        .value_kind:     global_buffer
      - .actual_access:  write_only
        .address_space:  global
        .offset:         88
        .size:           8
        .value_kind:     global_buffer
    .group_segment_fixed_size: 0
    .kernarg_segment_align: 8
    .kernarg_segment_size: 96
    .language:       OpenCL C
    .language_version:
      - 2
      - 0
    .max_flat_workgroup_size: 128
    .name:           fft_rtc_back_len52_factors_13_4_wgs_128_tpt_4_halfLds_dim1_dp_op_CI_CI_unitstride_sbrr_C2R_dirReg
    .private_segment_fixed_size: 0
    .sgpr_count:     50
    .sgpr_spill_count: 0
    .symbol:         fft_rtc_back_len52_factors_13_4_wgs_128_tpt_4_halfLds_dim1_dp_op_CI_CI_unitstride_sbrr_C2R_dirReg.kd
    .uniform_work_group_size: 1
    .uses_dynamic_stack: false
    .vgpr_count:     128
    .vgpr_spill_count: 0
    .wavefront_size: 64
amdhsa.target:   amdgcn-amd-amdhsa--gfx906
amdhsa.version:
  - 1
  - 2
...

	.end_amdgpu_metadata
